;; amdgpu-corpus repo=llvm/llvm-project kind=harvested arch=n/a opt=n/a
// NOTE: Assertions have been autogenerated by utils/update_mc_test_checks.py UTC_ARGS: --unique --sort --version 6
// RUN: not llvm-mc -triple=amdgcn %s -filetype=null 2>&1 | FileCheck --implicit-check-not=error: %s
// RUN: not llvm-mc -triple=amdgcn -mcpu=tahiti %s -filetype=null 2>&1 | FileCheck --implicit-check-not=error: %s

// TODO: Constant bus restrictions

//===----------------------------------------------------------------------===//
// Generic checks
//===----------------------------------------------------------------------===//

//===----------------------------------------------------------------------===//
// _e32 checks
//===----------------------------------------------------------------------===//

//===----------------------------------------------------------------------===//
// _e64 checks
//===----------------------------------------------------------------------===//

v_add_i32_e32 v1, s[0:1], v2, v3
// CHECK: :[[@LINE-1]]:19: error: invalid operand for instruction

v_addc_u32 v1, -1, v2, v3, vcc
// CHECK: :[[@LINE-1]]:16: error: invalid operand for instruction

v_addc_u32 v1, s[0:1], v2, v3, 123
// CHECK: :[[@LINE-1]]:16: error: invalid operand for instruction

v_addc_u32 v1, vcc, v2, v3, 0
// CHECK: :[[@LINE-1]]:29: error: invalid operand for instruction

v_addc_u32_e32 v1, -1, v2, v3, s0
// CHECK: :[[@LINE-1]]:20: error: invalid operand for instruction

v_addc_u32_e32 v1, s[0:1], v2, v3, s[2:3]
// CHECK: :[[@LINE-1]]:20: error: invalid operand for instruction

v_addc_u32_e32 v1, vcc, v2, v3, -1
// CHECK: :[[@LINE-1]]:33: error: invalid operand for instruction

v_addc_u32_e32 v1, vcc, v2, v3, 123
// CHECK: :[[@LINE-1]]:33: error: invalid operand for instruction

v_addc_u32_e32 v1, vcc, v2, v3, s0
	;; [unrolled: 3-line block ×3, first 2 shown]
// CHECK: :[[@LINE-1]]:33: error: invalid operand for instruction

v_addc_u32_e64 v1, 0, v2, v3, s[0:1]
// CHECK: :[[@LINE-1]]:20: error: invalid operand for instruction

v_addc_u32_e64 v1, s[0:1], v2, v3, 0
	;; [unrolled: 3-line block ×3, first 2 shown]
// CHECK: :[[@LINE-1]]:36: error: invalid operand for instruction

v_cndmask_b32_e32 v1, v2, v3, s[0:1]
// CHECK: :[[@LINE-1]]:31: error: invalid operand for instruction

v_mul_i32_i24 v1, v2, 100
// CHECK: :[[@LINE-1]]:23: error: literal operands are not supported

// Immediate src1
v_mul_i32_i24_e32 v1, v2, 100
// CHECK: :[[@LINE-1]]:27: error: invalid operand for instruction

// sgpr src1
v_mul_i32_i24_e32 v1, v2, s3
// CHECK: :[[@LINE-1]]:27: error: invalid operand for instruction

// Immediate src0
v_mul_i32_i24_e64 v1, 100, v3
// CHECK: :[[@LINE-1]]:23: error: literal operands are not supported

// Immediate src1
v_mul_i32_i24_e64 v1, v2, 100
// CHECK: :[[@LINE-1]]:27: error: literal operands are not supported
